;; amdgpu-corpus repo=ROCm/rocFFT kind=compiled arch=gfx1201 opt=O3
	.text
	.amdgcn_target "amdgcn-amd-amdhsa--gfx1201"
	.amdhsa_code_object_version 6
	.protected	fft_rtc_back_len528_factors_4_4_3_11_wgs_48_tpt_48_halfLds_dp_op_CI_CI_unitstride_sbrr_C2R_dirReg ; -- Begin function fft_rtc_back_len528_factors_4_4_3_11_wgs_48_tpt_48_halfLds_dp_op_CI_CI_unitstride_sbrr_C2R_dirReg
	.globl	fft_rtc_back_len528_factors_4_4_3_11_wgs_48_tpt_48_halfLds_dp_op_CI_CI_unitstride_sbrr_C2R_dirReg
	.p2align	8
	.type	fft_rtc_back_len528_factors_4_4_3_11_wgs_48_tpt_48_halfLds_dp_op_CI_CI_unitstride_sbrr_C2R_dirReg,@function
fft_rtc_back_len528_factors_4_4_3_11_wgs_48_tpt_48_halfLds_dp_op_CI_CI_unitstride_sbrr_C2R_dirReg: ; @fft_rtc_back_len528_factors_4_4_3_11_wgs_48_tpt_48_halfLds_dp_op_CI_CI_unitstride_sbrr_C2R_dirReg
; %bb.0:
	s_clause 0x2
	s_load_b128 s[8:11], s[0:1], 0x0
	s_load_b128 s[4:7], s[0:1], 0x58
	;; [unrolled: 1-line block ×3, first 2 shown]
	v_mul_u32_u24_e32 v1, 0x556, v0
	v_mov_b32_e32 v3, 0
	s_delay_alu instid0(VALU_DEP_2) | instskip(NEXT) | instid1(VALU_DEP_1)
	v_lshrrev_b32_e32 v1, 16, v1
	v_add_nc_u32_e32 v5, ttmp9, v1
	v_mov_b32_e32 v1, 0
	v_mov_b32_e32 v2, 0
	;; [unrolled: 1-line block ×3, first 2 shown]
	s_wait_kmcnt 0x0
	v_cmp_lt_u64_e64 s2, s[10:11], 2
	s_delay_alu instid0(VALU_DEP_1)
	s_and_b32 vcc_lo, exec_lo, s2
	s_cbranch_vccnz .LBB0_8
; %bb.1:
	s_load_b64 s[2:3], s[0:1], 0x10
	v_mov_b32_e32 v1, 0
	v_mov_b32_e32 v2, 0
	s_add_nc_u64 s[16:17], s[14:15], 8
	s_add_nc_u64 s[18:19], s[12:13], 8
	s_mov_b64 s[20:21], 1
	s_delay_alu instid0(VALU_DEP_1)
	v_dual_mov_b32 v57, v2 :: v_dual_mov_b32 v56, v1
	s_wait_kmcnt 0x0
	s_add_nc_u64 s[22:23], s[2:3], 8
	s_mov_b32 s3, 0
.LBB0_2:                                ; =>This Inner Loop Header: Depth=1
	s_load_b64 s[24:25], s[22:23], 0x0
                                        ; implicit-def: $vgpr60_vgpr61
	s_mov_b32 s2, exec_lo
	s_wait_kmcnt 0x0
	v_or_b32_e32 v4, s25, v6
	s_delay_alu instid0(VALU_DEP_1)
	v_cmpx_ne_u64_e32 0, v[3:4]
	s_wait_alu 0xfffe
	s_xor_b32 s26, exec_lo, s2
	s_cbranch_execz .LBB0_4
; %bb.3:                                ;   in Loop: Header=BB0_2 Depth=1
	s_cvt_f32_u32 s2, s24
	s_cvt_f32_u32 s27, s25
	s_sub_nc_u64 s[30:31], 0, s[24:25]
	s_wait_alu 0xfffe
	s_delay_alu instid0(SALU_CYCLE_1) | instskip(SKIP_1) | instid1(SALU_CYCLE_2)
	s_fmamk_f32 s2, s27, 0x4f800000, s2
	s_wait_alu 0xfffe
	v_s_rcp_f32 s2, s2
	s_delay_alu instid0(TRANS32_DEP_1) | instskip(SKIP_1) | instid1(SALU_CYCLE_2)
	s_mul_f32 s2, s2, 0x5f7ffffc
	s_wait_alu 0xfffe
	s_mul_f32 s27, s2, 0x2f800000
	s_wait_alu 0xfffe
	s_delay_alu instid0(SALU_CYCLE_2) | instskip(SKIP_1) | instid1(SALU_CYCLE_2)
	s_trunc_f32 s27, s27
	s_wait_alu 0xfffe
	s_fmamk_f32 s2, s27, 0xcf800000, s2
	s_cvt_u32_f32 s29, s27
	s_wait_alu 0xfffe
	s_delay_alu instid0(SALU_CYCLE_1) | instskip(SKIP_1) | instid1(SALU_CYCLE_2)
	s_cvt_u32_f32 s28, s2
	s_wait_alu 0xfffe
	s_mul_u64 s[34:35], s[30:31], s[28:29]
	s_wait_alu 0xfffe
	s_mul_hi_u32 s37, s28, s35
	s_mul_i32 s36, s28, s35
	s_mul_hi_u32 s2, s28, s34
	s_mul_i32 s33, s29, s34
	s_wait_alu 0xfffe
	s_add_nc_u64 s[36:37], s[2:3], s[36:37]
	s_mul_hi_u32 s27, s29, s34
	s_mul_hi_u32 s38, s29, s35
	s_add_co_u32 s2, s36, s33
	s_wait_alu 0xfffe
	s_add_co_ci_u32 s2, s37, s27
	s_mul_i32 s34, s29, s35
	s_add_co_ci_u32 s35, s38, 0
	s_wait_alu 0xfffe
	s_add_nc_u64 s[34:35], s[2:3], s[34:35]
	s_wait_alu 0xfffe
	v_add_co_u32 v4, s2, s28, s34
	s_delay_alu instid0(VALU_DEP_1) | instskip(SKIP_1) | instid1(VALU_DEP_1)
	s_cmp_lg_u32 s2, 0
	s_add_co_ci_u32 s29, s29, s35
	v_readfirstlane_b32 s28, v4
	s_wait_alu 0xfffe
	s_delay_alu instid0(VALU_DEP_1)
	s_mul_u64 s[30:31], s[30:31], s[28:29]
	s_wait_alu 0xfffe
	s_mul_hi_u32 s35, s28, s31
	s_mul_i32 s34, s28, s31
	s_mul_hi_u32 s2, s28, s30
	s_mul_i32 s33, s29, s30
	s_wait_alu 0xfffe
	s_add_nc_u64 s[34:35], s[2:3], s[34:35]
	s_mul_hi_u32 s27, s29, s30
	s_mul_hi_u32 s28, s29, s31
	s_wait_alu 0xfffe
	s_add_co_u32 s2, s34, s33
	s_add_co_ci_u32 s2, s35, s27
	s_mul_i32 s30, s29, s31
	s_add_co_ci_u32 s31, s28, 0
	s_wait_alu 0xfffe
	s_add_nc_u64 s[30:31], s[2:3], s[30:31]
	s_wait_alu 0xfffe
	v_add_co_u32 v4, s2, v4, s30
	s_delay_alu instid0(VALU_DEP_1) | instskip(SKIP_1) | instid1(VALU_DEP_1)
	s_cmp_lg_u32 s2, 0
	s_add_co_ci_u32 s2, s29, s31
	v_mul_hi_u32 v13, v5, v4
	s_wait_alu 0xfffe
	v_mad_co_u64_u32 v[7:8], null, v5, s2, 0
	v_mad_co_u64_u32 v[9:10], null, v6, v4, 0
	;; [unrolled: 1-line block ×3, first 2 shown]
	s_delay_alu instid0(VALU_DEP_3) | instskip(SKIP_1) | instid1(VALU_DEP_4)
	v_add_co_u32 v4, vcc_lo, v13, v7
	s_wait_alu 0xfffd
	v_add_co_ci_u32_e32 v7, vcc_lo, 0, v8, vcc_lo
	s_delay_alu instid0(VALU_DEP_2) | instskip(SKIP_1) | instid1(VALU_DEP_2)
	v_add_co_u32 v4, vcc_lo, v4, v9
	s_wait_alu 0xfffd
	v_add_co_ci_u32_e32 v4, vcc_lo, v7, v10, vcc_lo
	s_wait_alu 0xfffd
	v_add_co_ci_u32_e32 v7, vcc_lo, 0, v12, vcc_lo
	s_delay_alu instid0(VALU_DEP_2) | instskip(SKIP_1) | instid1(VALU_DEP_2)
	v_add_co_u32 v4, vcc_lo, v4, v11
	s_wait_alu 0xfffd
	v_add_co_ci_u32_e32 v9, vcc_lo, 0, v7, vcc_lo
	s_delay_alu instid0(VALU_DEP_2) | instskip(SKIP_1) | instid1(VALU_DEP_3)
	v_mul_lo_u32 v10, s25, v4
	v_mad_co_u64_u32 v[7:8], null, s24, v4, 0
	v_mul_lo_u32 v11, s24, v9
	s_delay_alu instid0(VALU_DEP_2) | instskip(NEXT) | instid1(VALU_DEP_2)
	v_sub_co_u32 v7, vcc_lo, v5, v7
	v_add3_u32 v8, v8, v11, v10
	s_delay_alu instid0(VALU_DEP_1) | instskip(SKIP_1) | instid1(VALU_DEP_1)
	v_sub_nc_u32_e32 v10, v6, v8
	s_wait_alu 0xfffd
	v_subrev_co_ci_u32_e64 v10, s2, s25, v10, vcc_lo
	v_add_co_u32 v11, s2, v4, 2
	s_wait_alu 0xf1ff
	v_add_co_ci_u32_e64 v12, s2, 0, v9, s2
	v_sub_co_u32 v13, s2, v7, s24
	v_sub_co_ci_u32_e32 v8, vcc_lo, v6, v8, vcc_lo
	s_wait_alu 0xf1ff
	v_subrev_co_ci_u32_e64 v10, s2, 0, v10, s2
	s_delay_alu instid0(VALU_DEP_3) | instskip(NEXT) | instid1(VALU_DEP_3)
	v_cmp_le_u32_e32 vcc_lo, s24, v13
	v_cmp_eq_u32_e64 s2, s25, v8
	s_wait_alu 0xfffd
	v_cndmask_b32_e64 v13, 0, -1, vcc_lo
	v_cmp_le_u32_e32 vcc_lo, s25, v10
	s_wait_alu 0xfffd
	v_cndmask_b32_e64 v14, 0, -1, vcc_lo
	v_cmp_le_u32_e32 vcc_lo, s24, v7
	;; [unrolled: 3-line block ×3, first 2 shown]
	s_wait_alu 0xfffd
	v_cndmask_b32_e64 v15, 0, -1, vcc_lo
	v_cmp_eq_u32_e32 vcc_lo, s25, v10
	s_wait_alu 0xf1ff
	s_delay_alu instid0(VALU_DEP_2)
	v_cndmask_b32_e64 v7, v15, v7, s2
	s_wait_alu 0xfffd
	v_cndmask_b32_e32 v10, v14, v13, vcc_lo
	v_add_co_u32 v13, vcc_lo, v4, 1
	s_wait_alu 0xfffd
	v_add_co_ci_u32_e32 v14, vcc_lo, 0, v9, vcc_lo
	s_delay_alu instid0(VALU_DEP_3) | instskip(SKIP_1) | instid1(VALU_DEP_2)
	v_cmp_ne_u32_e32 vcc_lo, 0, v10
	s_wait_alu 0xfffd
	v_cndmask_b32_e32 v8, v14, v12, vcc_lo
	v_cndmask_b32_e32 v10, v13, v11, vcc_lo
	v_cmp_ne_u32_e32 vcc_lo, 0, v7
	s_wait_alu 0xfffd
	s_delay_alu instid0(VALU_DEP_2)
	v_dual_cndmask_b32 v61, v9, v8 :: v_dual_cndmask_b32 v60, v4, v10
.LBB0_4:                                ;   in Loop: Header=BB0_2 Depth=1
	s_wait_alu 0xfffe
	s_and_not1_saveexec_b32 s2, s26
	s_cbranch_execz .LBB0_6
; %bb.5:                                ;   in Loop: Header=BB0_2 Depth=1
	v_cvt_f32_u32_e32 v4, s24
	s_sub_co_i32 s26, 0, s24
	v_mov_b32_e32 v61, v3
	s_delay_alu instid0(VALU_DEP_2) | instskip(NEXT) | instid1(TRANS32_DEP_1)
	v_rcp_iflag_f32_e32 v4, v4
	v_mul_f32_e32 v4, 0x4f7ffffe, v4
	s_delay_alu instid0(VALU_DEP_1) | instskip(SKIP_1) | instid1(VALU_DEP_1)
	v_cvt_u32_f32_e32 v4, v4
	s_wait_alu 0xfffe
	v_mul_lo_u32 v7, s26, v4
	s_delay_alu instid0(VALU_DEP_1) | instskip(NEXT) | instid1(VALU_DEP_1)
	v_mul_hi_u32 v7, v4, v7
	v_add_nc_u32_e32 v4, v4, v7
	s_delay_alu instid0(VALU_DEP_1) | instskip(NEXT) | instid1(VALU_DEP_1)
	v_mul_hi_u32 v4, v5, v4
	v_mul_lo_u32 v7, v4, s24
	v_add_nc_u32_e32 v8, 1, v4
	s_delay_alu instid0(VALU_DEP_2) | instskip(NEXT) | instid1(VALU_DEP_1)
	v_sub_nc_u32_e32 v7, v5, v7
	v_subrev_nc_u32_e32 v9, s24, v7
	v_cmp_le_u32_e32 vcc_lo, s24, v7
	s_wait_alu 0xfffd
	s_delay_alu instid0(VALU_DEP_2) | instskip(NEXT) | instid1(VALU_DEP_1)
	v_dual_cndmask_b32 v7, v7, v9 :: v_dual_cndmask_b32 v4, v4, v8
	v_cmp_le_u32_e32 vcc_lo, s24, v7
	s_delay_alu instid0(VALU_DEP_2) | instskip(SKIP_1) | instid1(VALU_DEP_1)
	v_add_nc_u32_e32 v8, 1, v4
	s_wait_alu 0xfffd
	v_cndmask_b32_e32 v60, v4, v8, vcc_lo
.LBB0_6:                                ;   in Loop: Header=BB0_2 Depth=1
	s_wait_alu 0xfffe
	s_or_b32 exec_lo, exec_lo, s2
	v_mul_lo_u32 v4, v61, s24
	s_delay_alu instid0(VALU_DEP_2)
	v_mul_lo_u32 v9, v60, s25
	s_load_b64 s[26:27], s[18:19], 0x0
	v_mad_co_u64_u32 v[7:8], null, v60, s24, 0
	s_load_b64 s[24:25], s[16:17], 0x0
	s_add_nc_u64 s[20:21], s[20:21], 1
	s_add_nc_u64 s[16:17], s[16:17], 8
	s_wait_alu 0xfffe
	v_cmp_ge_u64_e64 s2, s[20:21], s[10:11]
	s_add_nc_u64 s[18:19], s[18:19], 8
	s_add_nc_u64 s[22:23], s[22:23], 8
	v_add3_u32 v4, v8, v9, v4
	v_sub_co_u32 v5, vcc_lo, v5, v7
	s_wait_alu 0xfffd
	s_delay_alu instid0(VALU_DEP_2) | instskip(SKIP_2) | instid1(VALU_DEP_1)
	v_sub_co_ci_u32_e32 v4, vcc_lo, v6, v4, vcc_lo
	s_and_b32 vcc_lo, exec_lo, s2
	s_wait_kmcnt 0x0
	v_mul_lo_u32 v6, s26, v4
	v_mul_lo_u32 v7, s27, v5
	v_mad_co_u64_u32 v[1:2], null, s26, v5, v[1:2]
	v_mul_lo_u32 v4, s24, v4
	v_mul_lo_u32 v8, s25, v5
	v_mad_co_u64_u32 v[56:57], null, s24, v5, v[56:57]
	s_delay_alu instid0(VALU_DEP_4) | instskip(NEXT) | instid1(VALU_DEP_2)
	v_add3_u32 v2, v7, v2, v6
	v_add3_u32 v57, v8, v57, v4
	s_wait_alu 0xfffe
	s_cbranch_vccnz .LBB0_9
; %bb.7:                                ;   in Loop: Header=BB0_2 Depth=1
	v_dual_mov_b32 v5, v60 :: v_dual_mov_b32 v6, v61
	s_branch .LBB0_2
.LBB0_8:
	v_dual_mov_b32 v57, v2 :: v_dual_mov_b32 v56, v1
	v_dual_mov_b32 v61, v6 :: v_dual_mov_b32 v60, v5
.LBB0_9:
	s_load_b64 s[0:1], s[0:1], 0x28
	v_mul_hi_u32 v3, 0x5555556, v0
	s_lshl_b64 s[10:11], s[10:11], 3
                                        ; implicit-def: $vgpr58
	s_wait_alu 0xfffe
	s_add_nc_u64 s[2:3], s[14:15], s[10:11]
	s_wait_kmcnt 0x0
	v_cmp_gt_u64_e32 vcc_lo, s[0:1], v[60:61]
	v_cmp_le_u64_e64 s0, s[0:1], v[60:61]
	s_delay_alu instid0(VALU_DEP_1)
	s_and_saveexec_b32 s1, s0
	s_wait_alu 0xfffe
	s_xor_b32 s0, exec_lo, s1
; %bb.10:
	v_mul_u32_u24_e32 v1, 48, v3
                                        ; implicit-def: $vgpr3
	s_delay_alu instid0(VALU_DEP_1)
	v_sub_nc_u32_e32 v58, v0, v1
                                        ; implicit-def: $vgpr0
                                        ; implicit-def: $vgpr1_vgpr2
; %bb.11:
	s_wait_alu 0xfffe
	s_or_saveexec_b32 s1, s0
	s_load_b64 s[2:3], s[2:3], 0x0
	s_xor_b32 exec_lo, exec_lo, s1
	s_cbranch_execz .LBB0_15
; %bb.12:
	s_add_nc_u64 s[10:11], s[12:13], s[10:11]
	v_lshlrev_b64_e32 v[1:2], 4, v[1:2]
	s_load_b64 s[10:11], s[10:11], 0x0
	s_wait_kmcnt 0x0
	v_mul_lo_u32 v6, s11, v60
	v_mul_lo_u32 v7, s10, v61
	v_mad_co_u64_u32 v[4:5], null, s10, v60, 0
	s_delay_alu instid0(VALU_DEP_1) | instskip(SKIP_1) | instid1(VALU_DEP_2)
	v_add3_u32 v5, v5, v7, v6
	v_mul_u32_u24_e32 v6, 48, v3
	v_lshlrev_b64_e32 v[3:4], 4, v[4:5]
	s_delay_alu instid0(VALU_DEP_2) | instskip(NEXT) | instid1(VALU_DEP_1)
	v_sub_nc_u32_e32 v58, v0, v6
	v_lshlrev_b32_e32 v46, 4, v58
	s_delay_alu instid0(VALU_DEP_3) | instskip(SKIP_1) | instid1(VALU_DEP_4)
	v_add_co_u32 v0, s0, s4, v3
	s_wait_alu 0xf1ff
	v_add_co_ci_u32_e64 v3, s0, s5, v4, s0
	s_mov_b32 s4, exec_lo
	s_delay_alu instid0(VALU_DEP_2) | instskip(SKIP_1) | instid1(VALU_DEP_2)
	v_add_co_u32 v0, s0, v0, v1
	s_wait_alu 0xf1ff
	v_add_co_ci_u32_e64 v1, s0, v3, v2, s0
	s_delay_alu instid0(VALU_DEP_2) | instskip(SKIP_1) | instid1(VALU_DEP_2)
	v_add_co_u32 v42, s0, v0, v46
	s_wait_alu 0xf1ff
	v_add_co_ci_u32_e64 v43, s0, 0, v1, s0
	s_clause 0xa
	global_load_b128 v[2:5], v[42:43], off
	global_load_b128 v[6:9], v[42:43], off offset:768
	global_load_b128 v[10:13], v[42:43], off offset:1536
	global_load_b128 v[14:17], v[42:43], off offset:2304
	global_load_b128 v[18:21], v[42:43], off offset:3072
	global_load_b128 v[22:25], v[42:43], off offset:3840
	global_load_b128 v[26:29], v[42:43], off offset:4608
	global_load_b128 v[30:33], v[42:43], off offset:5376
	global_load_b128 v[34:37], v[42:43], off offset:6144
	global_load_b128 v[38:41], v[42:43], off offset:6912
	global_load_b128 v[42:45], v[42:43], off offset:7680
	v_add_nc_u32_e32 v46, 0, v46
	s_wait_loadcnt 0xa
	ds_store_b128 v46, v[2:5]
	s_wait_loadcnt 0x9
	ds_store_b128 v46, v[6:9] offset:768
	s_wait_loadcnt 0x8
	ds_store_b128 v46, v[10:13] offset:1536
	;; [unrolled: 2-line block ×10, first 2 shown]
	v_cmpx_eq_u32_e32 47, v58
	s_cbranch_execz .LBB0_14
; %bb.13:
	global_load_b128 v[0:3], v[0:1], off offset:8448
	v_mov_b32_e32 v4, 0
	v_mov_b32_e32 v58, 47
	s_wait_loadcnt 0x0
	ds_store_b128 v4, v[0:3] offset:8448
.LBB0_14:
	s_wait_alu 0xfffe
	s_or_b32 exec_lo, exec_lo, s4
.LBB0_15:
	s_delay_alu instid0(SALU_CYCLE_1)
	s_or_b32 exec_lo, exec_lo, s1
	v_lshlrev_b32_e32 v0, 4, v58
	global_wb scope:SCOPE_SE
	s_wait_dscnt 0x0
	s_wait_kmcnt 0x0
	s_barrier_signal -1
	s_barrier_wait -1
	global_inv scope:SCOPE_SE
	v_add_nc_u32_e32 v62, 0, v0
	v_sub_nc_u32_e32 v6, 0, v0
	s_mov_b32 s1, exec_lo
	ds_load_b64 v[2:3], v62
	ds_load_b64 v[4:5], v6 offset:8448
	s_wait_dscnt 0x0
	v_add_f64_e32 v[0:1], v[2:3], v[4:5]
	v_add_f64_e64 v[2:3], v[2:3], -v[4:5]
                                        ; implicit-def: $vgpr4_vgpr5
	v_cmpx_ne_u32_e32 0, v58
	s_wait_alu 0xfffe
	s_xor_b32 s1, exec_lo, s1
	s_cbranch_execz .LBB0_17
; %bb.16:
	v_mov_b32_e32 v59, 0
	s_delay_alu instid0(VALU_DEP_1) | instskip(NEXT) | instid1(VALU_DEP_1)
	v_lshlrev_b64_e32 v[4:5], 4, v[58:59]
	v_add_co_u32 v4, s0, s8, v4
	s_wait_alu 0xf1ff
	s_delay_alu instid0(VALU_DEP_2)
	v_add_co_ci_u32_e64 v5, s0, s9, v5, s0
	global_load_b128 v[7:10], v[4:5], off offset:8384
	ds_load_b64 v[4:5], v6 offset:8456
	ds_load_b64 v[11:12], v62 offset:8
	s_wait_dscnt 0x0
	v_add_f64_e32 v[13:14], v[4:5], v[11:12]
	v_add_f64_e64 v[4:5], v[11:12], -v[4:5]
	s_wait_loadcnt 0x0
	v_fma_f64 v[11:12], v[2:3], v[9:10], v[0:1]
	s_delay_alu instid0(VALU_DEP_2) | instskip(SKIP_2) | instid1(VALU_DEP_4)
	v_fma_f64 v[15:16], v[13:14], v[9:10], v[4:5]
	v_fma_f64 v[0:1], -v[2:3], v[9:10], v[0:1]
	v_fma_f64 v[4:5], v[13:14], v[9:10], -v[4:5]
	v_fma_f64 v[9:10], -v[13:14], v[7:8], v[11:12]
	s_delay_alu instid0(VALU_DEP_4) | instskip(NEXT) | instid1(VALU_DEP_4)
	v_fma_f64 v[11:12], v[2:3], v[7:8], v[15:16]
	v_fma_f64 v[0:1], v[13:14], v[7:8], v[0:1]
	s_delay_alu instid0(VALU_DEP_4)
	v_fma_f64 v[2:3], v[2:3], v[7:8], v[4:5]
	v_dual_mov_b32 v4, v58 :: v_dual_mov_b32 v5, v59
	ds_store_b128 v62, v[9:12]
	ds_store_b128 v6, v[0:3] offset:8448
                                        ; implicit-def: $vgpr0_vgpr1
.LBB0_17:
	s_wait_alu 0xfffe
	s_and_not1_saveexec_b32 s0, s1
	s_cbranch_execz .LBB0_19
; %bb.18:
	v_dual_mov_b32 v7, 0 :: v_dual_mov_b32 v4, 0
	ds_store_b128 v62, v[0:3]
	v_mov_b32_e32 v5, 0
	ds_load_b128 v[0:3], v7 offset:4224
	s_wait_dscnt 0x0
	v_add_f64_e32 v[0:1], v[0:1], v[0:1]
	v_mul_f64_e32 v[2:3], -2.0, v[2:3]
	ds_store_b128 v7, v[0:3] offset:4224
.LBB0_19:
	s_wait_alu 0xfffe
	s_or_b32 exec_lo, exec_lo, s0
	v_lshlrev_b64_e32 v[0:1], 4, v[4:5]
	s_add_nc_u64 s[0:1], s[8:9], 0x20c0
	s_wait_alu 0xfffe
	s_delay_alu instid0(VALU_DEP_1) | instskip(SKIP_1) | instid1(VALU_DEP_2)
	v_add_co_u32 v0, s0, s0, v0
	s_wait_alu 0xf1ff
	v_add_co_ci_u32_e64 v1, s0, s1, v1, s0
	s_mov_b32 s1, exec_lo
	s_clause 0x1
	global_load_b128 v[2:5], v[0:1], off offset:768
	global_load_b128 v[7:10], v[0:1], off offset:1536
	ds_load_b128 v[11:14], v62 offset:768
	ds_load_b128 v[15:18], v6 offset:7680
	global_load_b128 v[19:22], v[0:1], off offset:2304
	s_wait_dscnt 0x0
	v_add_f64_e32 v[23:24], v[11:12], v[15:16]
	v_add_f64_e32 v[25:26], v[17:18], v[13:14]
	v_add_f64_e64 v[27:28], v[11:12], -v[15:16]
	v_add_f64_e64 v[11:12], v[13:14], -v[17:18]
	s_wait_loadcnt 0x2
	s_delay_alu instid0(VALU_DEP_2) | instskip(NEXT) | instid1(VALU_DEP_2)
	v_fma_f64 v[13:14], v[27:28], v[4:5], v[23:24]
	v_fma_f64 v[15:16], v[25:26], v[4:5], v[11:12]
	v_fma_f64 v[17:18], -v[27:28], v[4:5], v[23:24]
	v_fma_f64 v[4:5], v[25:26], v[4:5], -v[11:12]
	s_delay_alu instid0(VALU_DEP_4) | instskip(NEXT) | instid1(VALU_DEP_4)
	v_fma_f64 v[11:12], -v[25:26], v[2:3], v[13:14]
	v_fma_f64 v[13:14], v[27:28], v[2:3], v[15:16]
	s_delay_alu instid0(VALU_DEP_4) | instskip(NEXT) | instid1(VALU_DEP_4)
	v_fma_f64 v[15:16], v[25:26], v[2:3], v[17:18]
	v_fma_f64 v[17:18], v[27:28], v[2:3], v[4:5]
	ds_store_b128 v62, v[11:14] offset:768
	ds_store_b128 v6, v[15:18] offset:7680
	ds_load_b128 v[2:5], v62 offset:1536
	ds_load_b128 v[11:14], v6 offset:6912
	global_load_b128 v[15:18], v[0:1], off offset:3072
	s_wait_dscnt 0x0
	v_add_f64_e32 v[23:24], v[2:3], v[11:12]
	v_add_f64_e32 v[25:26], v[13:14], v[4:5]
	v_add_f64_e64 v[11:12], v[2:3], -v[11:12]
	v_add_f64_e64 v[2:3], v[4:5], -v[13:14]
	s_wait_loadcnt 0x2
	s_delay_alu instid0(VALU_DEP_2) | instskip(NEXT) | instid1(VALU_DEP_2)
	v_fma_f64 v[4:5], v[11:12], v[9:10], v[23:24]
	v_fma_f64 v[13:14], v[25:26], v[9:10], v[2:3]
	v_fma_f64 v[23:24], -v[11:12], v[9:10], v[23:24]
	v_fma_f64 v[27:28], v[25:26], v[9:10], -v[2:3]
	s_delay_alu instid0(VALU_DEP_4) | instskip(NEXT) | instid1(VALU_DEP_4)
	v_fma_f64 v[2:3], -v[25:26], v[7:8], v[4:5]
	v_fma_f64 v[4:5], v[11:12], v[7:8], v[13:14]
	s_delay_alu instid0(VALU_DEP_4) | instskip(NEXT) | instid1(VALU_DEP_4)
	v_fma_f64 v[9:10], v[25:26], v[7:8], v[23:24]
	v_fma_f64 v[11:12], v[11:12], v[7:8], v[27:28]
	ds_store_b128 v62, v[2:5] offset:1536
	ds_store_b128 v6, v[9:12] offset:6912
	ds_load_b128 v[2:5], v62 offset:2304
	ds_load_b128 v[7:10], v6 offset:6144
	s_wait_dscnt 0x0
	v_add_f64_e32 v[11:12], v[2:3], v[7:8]
	v_add_f64_e32 v[13:14], v[9:10], v[4:5]
	v_add_f64_e64 v[23:24], v[2:3], -v[7:8]
	v_add_f64_e64 v[2:3], v[4:5], -v[9:10]
	s_wait_loadcnt 0x1
	s_delay_alu instid0(VALU_DEP_2) | instskip(NEXT) | instid1(VALU_DEP_2)
	v_fma_f64 v[4:5], v[23:24], v[21:22], v[11:12]
	v_fma_f64 v[7:8], v[13:14], v[21:22], v[2:3]
	v_fma_f64 v[9:10], -v[23:24], v[21:22], v[11:12]
	v_fma_f64 v[11:12], v[13:14], v[21:22], -v[2:3]
	s_delay_alu instid0(VALU_DEP_4) | instskip(NEXT) | instid1(VALU_DEP_4)
	v_fma_f64 v[2:3], -v[13:14], v[19:20], v[4:5]
	v_fma_f64 v[4:5], v[23:24], v[19:20], v[7:8]
	s_delay_alu instid0(VALU_DEP_4) | instskip(NEXT) | instid1(VALU_DEP_4)
	v_fma_f64 v[7:8], v[13:14], v[19:20], v[9:10]
	v_fma_f64 v[9:10], v[23:24], v[19:20], v[11:12]
	ds_store_b128 v62, v[2:5] offset:2304
	ds_store_b128 v6, v[7:10] offset:6144
	ds_load_b128 v[2:5], v62 offset:3072
	ds_load_b128 v[7:10], v6 offset:5376
	s_wait_dscnt 0x0
	v_add_f64_e32 v[11:12], v[2:3], v[7:8]
	v_add_f64_e32 v[13:14], v[9:10], v[4:5]
	v_add_f64_e64 v[19:20], v[2:3], -v[7:8]
	v_add_f64_e64 v[2:3], v[4:5], -v[9:10]
	s_wait_loadcnt 0x0
	s_delay_alu instid0(VALU_DEP_2) | instskip(NEXT) | instid1(VALU_DEP_2)
	v_fma_f64 v[4:5], v[19:20], v[17:18], v[11:12]
	v_fma_f64 v[7:8], v[13:14], v[17:18], v[2:3]
	v_fma_f64 v[9:10], -v[19:20], v[17:18], v[11:12]
	v_fma_f64 v[11:12], v[13:14], v[17:18], -v[2:3]
	s_delay_alu instid0(VALU_DEP_4) | instskip(NEXT) | instid1(VALU_DEP_4)
	v_fma_f64 v[2:3], -v[13:14], v[15:16], v[4:5]
	v_fma_f64 v[4:5], v[19:20], v[15:16], v[7:8]
	s_delay_alu instid0(VALU_DEP_4) | instskip(NEXT) | instid1(VALU_DEP_4)
	v_fma_f64 v[7:8], v[13:14], v[15:16], v[9:10]
	v_fma_f64 v[9:10], v[19:20], v[15:16], v[11:12]
	ds_store_b128 v62, v[2:5] offset:3072
	ds_store_b128 v6, v[7:10] offset:5376
	v_cmpx_gt_u32_e32 24, v58
	s_cbranch_execz .LBB0_21
; %bb.20:
	global_load_b128 v[0:3], v[0:1], off offset:3840
	ds_load_b128 v[7:10], v62 offset:3840
	ds_load_b128 v[11:14], v6 offset:4608
	s_wait_dscnt 0x0
	v_add_f64_e32 v[4:5], v[7:8], v[11:12]
	v_add_f64_e32 v[15:16], v[13:14], v[9:10]
	v_add_f64_e64 v[11:12], v[7:8], -v[11:12]
	v_add_f64_e64 v[7:8], v[9:10], -v[13:14]
	s_wait_loadcnt 0x0
	s_delay_alu instid0(VALU_DEP_2) | instskip(NEXT) | instid1(VALU_DEP_2)
	v_fma_f64 v[9:10], v[11:12], v[2:3], v[4:5]
	v_fma_f64 v[13:14], v[15:16], v[2:3], v[7:8]
	v_fma_f64 v[17:18], -v[11:12], v[2:3], v[4:5]
	v_fma_f64 v[19:20], v[15:16], v[2:3], -v[7:8]
	s_delay_alu instid0(VALU_DEP_4) | instskip(NEXT) | instid1(VALU_DEP_4)
	v_fma_f64 v[2:3], -v[15:16], v[0:1], v[9:10]
	v_fma_f64 v[4:5], v[11:12], v[0:1], v[13:14]
	s_delay_alu instid0(VALU_DEP_4) | instskip(NEXT) | instid1(VALU_DEP_4)
	v_fma_f64 v[7:8], v[15:16], v[0:1], v[17:18]
	v_fma_f64 v[9:10], v[11:12], v[0:1], v[19:20]
	ds_store_b128 v62, v[2:5] offset:3840
	ds_store_b128 v6, v[7:10] offset:4608
.LBB0_21:
	s_wait_alu 0xfffe
	s_or_b32 exec_lo, exec_lo, s1
	global_wb scope:SCOPE_SE
	s_wait_dscnt 0x0
	s_barrier_signal -1
	s_barrier_wait -1
	global_inv scope:SCOPE_SE
	global_wb scope:SCOPE_SE
	s_barrier_signal -1
	s_barrier_wait -1
	global_inv scope:SCOPE_SE
	ds_load_b128 v[0:3], v62 offset:4224
	ds_load_b128 v[4:7], v62
	ds_load_b128 v[8:11], v62 offset:2112
	ds_load_b128 v[12:15], v62 offset:6336
	ds_load_b128 v[16:19], v62 offset:768
	ds_load_b128 v[20:23], v62 offset:4992
	ds_load_b128 v[24:27], v62 offset:2880
	ds_load_b128 v[28:31], v62 offset:7104
	ds_load_b128 v[32:35], v62 offset:1536
	ds_load_b128 v[36:39], v62 offset:5760
	ds_load_b128 v[40:43], v62 offset:3648
	ds_load_b128 v[44:47], v62 offset:7872
	v_add_nc_u32_e32 v59, 0x60, v58
	v_cmp_gt_u32_e64 s0, 36, v58
	global_wb scope:SCOPE_SE
	s_wait_dscnt 0x0
	s_barrier_signal -1
	s_barrier_wait -1
	global_inv scope:SCOPE_SE
	v_add_f64_e64 v[0:1], v[4:5], -v[0:1]
	v_add_f64_e64 v[2:3], v[6:7], -v[2:3]
	;; [unrolled: 1-line block ×12, first 2 shown]
	v_fma_f64 v[44:45], v[4:5], 2.0, -v[0:1]
	v_fma_f64 v[46:47], v[6:7], 2.0, -v[2:3]
	;; [unrolled: 1-line block ×12, first 2 shown]
	v_add_f64_e32 v[16:17], v[0:1], v[14:15]
	v_add_f64_e64 v[18:19], v[2:3], -v[12:13]
	v_add_f64_e32 v[20:21], v[48:49], v[20:21]
	v_add_f64_e64 v[22:23], v[50:51], -v[22:23]
	v_add_f64_e64 v[24:25], v[44:45], -v[4:5]
	;; [unrolled: 1-line block ×3, first 2 shown]
	v_add_f64_e32 v[4:5], v[52:53], v[38:39]
	v_add_f64_e64 v[6:7], v[54:55], -v[36:37]
	v_add_f64_e64 v[28:29], v[63:64], -v[8:9]
	;; [unrolled: 1-line block ×5, first 2 shown]
	v_fma_f64 v[32:33], v[0:1], 2.0, -v[16:17]
	v_fma_f64 v[34:35], v[2:3], 2.0, -v[18:19]
	v_fma_f64 v[36:37], v[48:49], 2.0, -v[20:21]
	v_fma_f64 v[38:39], v[50:51], 2.0, -v[22:23]
	v_mad_u32_u24 v48, v58, 48, v62
	v_fma_f64 v[40:41], v[44:45], 2.0, -v[24:25]
	v_fma_f64 v[42:43], v[46:47], 2.0, -v[26:27]
	;; [unrolled: 1-line block ×6, first 2 shown]
	v_add_nc_u32_e32 v63, 48, v58
	v_fma_f64 v[0:1], v[67:68], 2.0, -v[8:9]
	v_fma_f64 v[2:3], v[69:70], 2.0, -v[10:11]
	s_delay_alu instid0(VALU_DEP_3)
	v_lshl_add_u32 v49, v63, 6, 0
	ds_store_b128 v48, v[24:27] offset:32
	ds_store_b128 v48, v[16:19] offset:48
	ds_store_b128 v48, v[40:43]
	ds_store_b128 v48, v[32:35] offset:16
	ds_store_b128 v49, v[44:47]
	ds_store_b128 v49, v[36:39] offset:16
	ds_store_b128 v49, v[28:31] offset:32
	;; [unrolled: 1-line block ×3, first 2 shown]
	s_and_saveexec_b32 s1, s0
	s_cbranch_execz .LBB0_23
; %bb.22:
	v_lshl_add_u32 v16, v59, 6, 0
	ds_store_b128 v16, v[0:3]
	ds_store_b128 v16, v[12:15] offset:16
	ds_store_b128 v16, v[8:11] offset:32
	;; [unrolled: 1-line block ×3, first 2 shown]
.LBB0_23:
	s_wait_alu 0xfffe
	s_or_b32 exec_lo, exec_lo, s1
	global_wb scope:SCOPE_SE
	s_wait_dscnt 0x0
	s_barrier_signal -1
	s_barrier_wait -1
	global_inv scope:SCOPE_SE
	ds_load_b128 v[16:19], v62
	ds_load_b128 v[20:23], v62 offset:768
	ds_load_b128 v[36:39], v62 offset:2112
	;; [unrolled: 1-line block ×7, first 2 shown]
	v_lshlrev_b32_e32 v48, 2, v63
	s_and_saveexec_b32 s1, s0
	s_cbranch_execz .LBB0_25
; %bb.24:
	ds_load_b128 v[0:3], v62 offset:1536
	ds_load_b128 v[12:15], v62 offset:3648
	;; [unrolled: 1-line block ×4, first 2 shown]
.LBB0_25:
	s_wait_alu 0xfffe
	s_or_b32 exec_lo, exec_lo, s1
	v_and_b32_e32 v49, 3, v58
	s_delay_alu instid0(VALU_DEP_1) | instskip(SKIP_1) | instid1(VALU_DEP_2)
	v_mul_u32_u24_e32 v50, 3, v49
	v_and_or_b32 v48, 0x1f0, v48, v49
	v_lshlrev_b32_e32 v54, 4, v50
	s_delay_alu instid0(VALU_DEP_2)
	v_lshl_add_u32 v48, v48, 4, 0
	s_clause 0x2
	global_load_b128 v[50:53], v54, s[8:9]
	global_load_b128 v[64:67], v54, s[8:9] offset:16
	global_load_b128 v[68:71], v54, s[8:9] offset:32
	global_wb scope:SCOPE_SE
	s_wait_loadcnt_dscnt 0x0
	s_barrier_signal -1
	s_barrier_wait -1
	global_inv scope:SCOPE_SE
	v_mul_f64_e32 v[54:55], v[38:39], v[52:53]
	v_mul_f64_e32 v[72:73], v[36:37], v[52:53]
	;; [unrolled: 1-line block ×16, first 2 shown]
	v_fma_f64 v[36:37], v[36:37], v[50:51], v[54:55]
	v_fma_f64 v[38:39], v[38:39], v[50:51], -v[72:73]
	v_fma_f64 v[40:41], v[40:41], v[64:65], v[74:75]
	v_fma_f64 v[42:43], v[42:43], v[64:65], -v[76:77]
	v_fma_f64 v[44:45], v[44:45], v[68:69], v[78:79]
	v_fma_f64 v[46:47], v[46:47], v[68:69], -v[80:81]
	v_mul_f64_e32 v[54:55], v[6:7], v[70:71]
	v_mul_f64_e32 v[70:71], v[4:5], v[70:71]
	v_fma_f64 v[24:25], v[24:25], v[50:51], v[82:83]
	v_fma_f64 v[26:27], v[26:27], v[50:51], -v[84:85]
	v_fma_f64 v[28:29], v[28:29], v[64:65], v[86:87]
	v_fma_f64 v[30:31], v[30:31], v[64:65], -v[88:89]
	v_fma_f64 v[32:33], v[32:33], v[68:69], v[90:91]
	v_fma_f64 v[34:35], v[34:35], v[68:69], -v[92:93]
	v_fma_f64 v[72:73], v[12:13], v[50:51], v[94:95]
	v_fma_f64 v[50:51], v[14:15], v[50:51], -v[52:53]
	v_fma_f64 v[8:9], v[8:9], v[64:65], v[96:97]
	v_fma_f64 v[10:11], v[10:11], v[64:65], -v[66:67]
	v_add_f64_e64 v[40:41], v[16:17], -v[40:41]
	v_add_f64_e64 v[42:43], v[18:19], -v[42:43]
	;; [unrolled: 1-line block ×4, first 2 shown]
	v_fma_f64 v[4:5], v[4:5], v[68:69], v[54:55]
	v_fma_f64 v[6:7], v[6:7], v[68:69], -v[70:71]
	v_add_f64_e64 v[44:45], v[20:21], -v[28:29]
	v_add_f64_e64 v[46:47], v[22:23], -v[30:31]
	;; [unrolled: 1-line block ×6, first 2 shown]
	v_fma_f64 v[8:9], v[16:17], 2.0, -v[40:41]
	v_fma_f64 v[10:11], v[18:19], 2.0, -v[42:43]
	;; [unrolled: 1-line block ×4, first 2 shown]
	v_add_f64_e64 v[68:69], v[72:73], -v[4:5]
	v_add_f64_e64 v[4:5], v[50:51], -v[6:7]
	v_add_f64_e32 v[16:17], v[40:41], v[14:15]
	v_add_f64_e64 v[18:19], v[42:43], -v[12:13]
	v_fma_f64 v[64:65], v[20:21], 2.0, -v[44:45]
	v_fma_f64 v[66:67], v[22:23], 2.0, -v[46:47]
	;; [unrolled: 1-line block ×4, first 2 shown]
	v_add_f64_e32 v[20:21], v[44:45], v[30:31]
	v_add_f64_e64 v[22:23], v[46:47], -v[28:29]
	v_fma_f64 v[12:13], v[0:1], 2.0, -v[52:53]
	v_fma_f64 v[14:15], v[2:3], 2.0, -v[54:55]
	v_add_f64_e64 v[24:25], v[8:9], -v[32:33]
	v_add_f64_e64 v[26:27], v[10:11], -v[34:35]
	v_fma_f64 v[0:1], v[72:73], 2.0, -v[68:69]
	v_fma_f64 v[2:3], v[50:51], 2.0, -v[4:5]
	v_add_f64_e32 v[4:5], v[52:53], v[4:5]
	v_add_f64_e64 v[6:7], v[54:55], -v[68:69]
	v_fma_f64 v[32:33], v[40:41], 2.0, -v[16:17]
	v_fma_f64 v[34:35], v[42:43], 2.0, -v[18:19]
	v_add_f64_e64 v[28:29], v[64:65], -v[36:37]
	v_add_f64_e64 v[30:31], v[66:67], -v[38:39]
	v_fma_f64 v[36:37], v[44:45], 2.0, -v[20:21]
	v_fma_f64 v[38:39], v[46:47], 2.0, -v[22:23]
	v_lshlrev_b32_e32 v50, 2, v58
	s_delay_alu instid0(VALU_DEP_1) | instskip(NEXT) | instid1(VALU_DEP_1)
	v_and_or_b32 v50, 0xf0, v50, v49
	v_lshl_add_u32 v50, v50, 4, 0
	v_fma_f64 v[40:41], v[8:9], 2.0, -v[24:25]
	v_fma_f64 v[42:43], v[10:11], 2.0, -v[26:27]
	v_add_f64_e64 v[8:9], v[12:13], -v[0:1]
	v_add_f64_e64 v[10:11], v[14:15], -v[2:3]
	v_fma_f64 v[0:1], v[52:53], 2.0, -v[4:5]
	v_fma_f64 v[2:3], v[54:55], 2.0, -v[6:7]
	v_fma_f64 v[44:45], v[64:65], 2.0, -v[28:29]
	v_fma_f64 v[46:47], v[66:67], 2.0, -v[30:31]
	ds_store_b128 v50, v[24:27] offset:128
	ds_store_b128 v50, v[16:19] offset:192
	ds_store_b128 v50, v[40:43]
	ds_store_b128 v50, v[32:35] offset:64
	ds_store_b128 v48, v[44:47]
	ds_store_b128 v48, v[36:39] offset:64
	ds_store_b128 v48, v[28:31] offset:128
	;; [unrolled: 1-line block ×3, first 2 shown]
	s_and_saveexec_b32 s1, s0
	s_cbranch_execz .LBB0_27
; %bb.26:
	v_fma_f64 v[14:15], v[14:15], 2.0, -v[10:11]
	v_fma_f64 v[12:13], v[12:13], 2.0, -v[8:9]
	v_lshlrev_b32_e32 v16, 2, v59
	s_delay_alu instid0(VALU_DEP_1) | instskip(NEXT) | instid1(VALU_DEP_1)
	v_and_or_b32 v16, 0x3f0, v16, v49
	v_lshl_add_u32 v16, v16, 4, 0
	ds_store_b128 v16, v[12:15]
	ds_store_b128 v16, v[0:3] offset:64
	ds_store_b128 v16, v[8:11] offset:128
	;; [unrolled: 1-line block ×3, first 2 shown]
.LBB0_27:
	s_wait_alu 0xfffe
	s_or_b32 exec_lo, exec_lo, s1
	global_wb scope:SCOPE_SE
	s_wait_dscnt 0x0
	s_barrier_signal -1
	s_barrier_wait -1
	global_inv scope:SCOPE_SE
	ds_load_b128 v[20:23], v62
	ds_load_b128 v[12:15], v62 offset:768
	ds_load_b128 v[44:47], v62 offset:5632
	;; [unrolled: 1-line block ×8, first 2 shown]
	v_cmp_gt_u32_e64 s0, 32, v58
	s_delay_alu instid0(VALU_DEP_1)
	s_and_saveexec_b32 s1, s0
	s_cbranch_execz .LBB0_29
; %bb.28:
	ds_load_b128 v[0:3], v62 offset:2304
	ds_load_b128 v[8:11], v62 offset:5120
	;; [unrolled: 1-line block ×3, first 2 shown]
.LBB0_29:
	s_wait_alu 0xfffe
	s_or_b32 exec_lo, exec_lo, s1
	v_and_b32_e32 v64, 15, v58
	s_mov_b32 s4, 0xe8584caa
	s_mov_b32 s5, 0xbfebb67a
	;; [unrolled: 1-line block ×3, first 2 shown]
	s_wait_alu 0xfffe
	s_mov_b32 s10, s4
	v_lshlrev_b32_e32 v24, 5, v64
	v_lshrrev_b32_e32 v63, 4, v63
	v_lshrrev_b32_e32 v59, 4, v59
	s_clause 0x1
	global_load_b128 v[28:31], v24, s[8:9] offset:192
	global_load_b128 v[24:27], v24, s[8:9] offset:208
	v_mul_u32_u24_e32 v63, 48, v63
	v_mul_u32_u24_e32 v59, 48, v59
	global_wb scope:SCOPE_SE
	s_wait_loadcnt_dscnt 0x0
	s_barrier_signal -1
	s_barrier_wait -1
	v_or_b32_e32 v63, v63, v64
	v_or_b32_e32 v59, v59, v64
	global_inv scope:SCOPE_SE
	v_lshl_add_u32 v63, v63, 4, 0
	v_lshl_add_u32 v59, v59, 4, 0
	v_mul_f64_e32 v[65:66], v[54:55], v[30:31]
	v_mul_f64_e32 v[67:68], v[46:47], v[26:27]
	;; [unrolled: 1-line block ×12, first 2 shown]
	v_fma_f64 v[52:53], v[52:53], v[28:29], v[65:66]
	v_fma_f64 v[44:45], v[44:45], v[24:25], v[67:68]
	v_fma_f64 v[54:55], v[54:55], v[28:29], -v[69:70]
	v_fma_f64 v[46:47], v[46:47], v[24:25], -v[71:72]
	v_fma_f64 v[48:49], v[48:49], v[28:29], v[73:74]
	v_fma_f64 v[32:33], v[32:33], v[24:25], v[75:76]
	v_fma_f64 v[50:51], v[50:51], v[28:29], -v[77:78]
	v_fma_f64 v[34:35], v[34:35], v[24:25], -v[79:80]
	;; [unrolled: 4-line block ×3, first 2 shown]
	v_add_f64_e32 v[77:78], v[20:21], v[52:53]
	v_add_f64_e32 v[65:66], v[52:53], v[44:45]
	v_add_f64_e64 v[52:53], v[52:53], -v[44:45]
	v_add_f64_e32 v[67:68], v[54:55], v[46:47]
	v_add_f64_e64 v[79:80], v[54:55], -v[46:47]
	v_add_f64_e32 v[69:70], v[48:49], v[32:33]
	v_add_f64_e32 v[54:55], v[22:23], v[54:55]
	;; [unrolled: 1-line block ×9, first 2 shown]
	v_add_f64_e64 v[50:51], v[50:51], -v[34:35]
	v_add_f64_e64 v[48:49], v[48:49], -v[32:33]
	;; [unrolled: 1-line block ×4, first 2 shown]
	v_fma_f64 v[65:66], v[65:66], -0.5, v[20:21]
	v_fma_f64 v[67:68], v[67:68], -0.5, v[22:23]
	;; [unrolled: 1-line block ×3, first 2 shown]
	v_add_f64_e32 v[12:13], v[77:78], v[44:45]
	v_fma_f64 v[71:72], v[71:72], -0.5, v[14:15]
	v_add_f64_e32 v[14:15], v[54:55], v[46:47]
	v_fma_f64 v[73:74], v[73:74], -0.5, v[16:17]
	;; [unrolled: 2-line block ×3, first 2 shown]
	v_add_f64_e32 v[18:19], v[83:84], v[34:35]
	v_add_f64_e32 v[20:21], v[85:86], v[40:41]
	;; [unrolled: 1-line block ×3, first 2 shown]
	v_fma_f64 v[32:33], v[79:80], s[4:5], v[65:66]
	s_wait_alu 0xfffe
	v_fma_f64 v[36:37], v[79:80], s[10:11], v[65:66]
	v_fma_f64 v[34:35], v[52:53], s[10:11], v[67:68]
	;; [unrolled: 1-line block ×11, first 2 shown]
	v_lshrrev_b32_e32 v65, 4, v58
	s_delay_alu instid0(VALU_DEP_1) | instskip(NEXT) | instid1(VALU_DEP_1)
	v_mul_u32_u24_e32 v65, 48, v65
	v_or_b32_e32 v65, v65, v64
	s_delay_alu instid0(VALU_DEP_1)
	v_lshl_add_u32 v65, v65, 4, 0
	ds_store_b128 v65, v[12:15]
	ds_store_b128 v65, v[32:35] offset:256
	ds_store_b128 v65, v[36:39] offset:512
	ds_store_b128 v63, v[16:19]
	ds_store_b128 v63, v[40:43] offset:256
	ds_store_b128 v63, v[44:47] offset:512
	;; [unrolled: 3-line block ×3, first 2 shown]
	s_and_saveexec_b32 s1, s0
	s_cbranch_execz .LBB0_31
; %bb.30:
	v_mul_f64_e32 v[12:13], v[8:9], v[30:31]
	v_mul_f64_e32 v[14:15], v[4:5], v[26:27]
	;; [unrolled: 1-line block ×4, first 2 shown]
	s_delay_alu instid0(VALU_DEP_4) | instskip(NEXT) | instid1(VALU_DEP_4)
	v_fma_f64 v[10:11], v[10:11], v[28:29], -v[12:13]
	v_fma_f64 v[6:7], v[6:7], v[24:25], -v[14:15]
	s_delay_alu instid0(VALU_DEP_4) | instskip(NEXT) | instid1(VALU_DEP_4)
	v_fma_f64 v[8:9], v[8:9], v[28:29], v[16:17]
	v_fma_f64 v[4:5], v[4:5], v[24:25], v[18:19]
	s_delay_alu instid0(VALU_DEP_4) | instskip(NEXT) | instid1(VALU_DEP_4)
	v_add_f64_e32 v[18:19], v[2:3], v[10:11]
	v_add_f64_e32 v[12:13], v[10:11], v[6:7]
	v_add_f64_e64 v[20:21], v[10:11], -v[6:7]
	s_delay_alu instid0(VALU_DEP_4)
	v_add_f64_e32 v[14:15], v[8:9], v[4:5]
	v_add_f64_e64 v[16:17], v[8:9], -v[4:5]
	v_add_f64_e32 v[8:9], v[0:1], v[8:9]
	v_fma_f64 v[12:13], v[12:13], -0.5, v[2:3]
	v_add_f64_e32 v[2:3], v[18:19], v[6:7]
	v_fma_f64 v[14:15], v[14:15], -0.5, v[0:1]
	s_delay_alu instid0(VALU_DEP_4) | instskip(NEXT) | instid1(VALU_DEP_4)
	v_add_f64_e32 v[0:1], v[8:9], v[4:5]
	v_fma_f64 v[10:11], v[16:17], s[10:11], v[12:13]
	v_fma_f64 v[6:7], v[16:17], s[4:5], v[12:13]
	s_delay_alu instid0(VALU_DEP_4) | instskip(SKIP_2) | instid1(VALU_DEP_1)
	v_fma_f64 v[8:9], v[20:21], s[4:5], v[14:15]
	v_fma_f64 v[4:5], v[20:21], s[10:11], v[14:15]
	v_add_nc_u32_e32 v12, 0x90, v58
	v_lshrrev_b32_e32 v12, 4, v12
	s_delay_alu instid0(VALU_DEP_1) | instskip(NEXT) | instid1(VALU_DEP_1)
	v_mul_u32_u24_e32 v12, 48, v12
	v_or_b32_e32 v12, v12, v64
	s_delay_alu instid0(VALU_DEP_1)
	v_lshl_add_u32 v12, v12, 4, 0
	ds_store_b128 v12, v[0:3]
	ds_store_b128 v12, v[8:11] offset:256
	ds_store_b128 v12, v[4:7] offset:512
.LBB0_31:
	s_wait_alu 0xfffe
	s_or_b32 exec_lo, exec_lo, s1
	v_mul_u32_u24_e32 v0, 10, v58
	global_wb scope:SCOPE_SE
	s_wait_dscnt 0x0
	s_barrier_signal -1
	s_barrier_wait -1
	global_inv scope:SCOPE_SE
	v_lshlrev_b32_e32 v0, 4, v0
	s_mov_b32 s12, 0xd9c712b6
	s_mov_b32 s0, 0xf8bb580b
	;; [unrolled: 1-line block ×4, first 2 shown]
	s_clause 0x9
	global_load_b128 v[4:7], v0, s[8:9] offset:704
	global_load_b128 v[10:13], v0, s[8:9] offset:848
	;; [unrolled: 1-line block ×10, first 2 shown]
	ds_load_b128 v[46:49], v62 offset:768
	ds_load_b128 v[0:3], v62
	s_mov_b32 s8, 0x8eee2c13
	s_mov_b32 s9, 0xbfed1bb4
	;; [unrolled: 1-line block ×20, first 2 shown]
	s_wait_alu 0xfffe
	s_mov_b32 s4, s0
	s_mov_b32 s10, s8
	;; [unrolled: 1-line block ×6, first 2 shown]
	s_wait_loadcnt_dscnt 0x901
	v_mul_f64_e32 v[54:55], v[48:49], v[6:7]
	v_mul_f64_e32 v[91:92], v[46:47], v[6:7]
	ds_load_b128 v[6:9], v62 offset:7680
	ds_load_b128 v[50:53], v62 offset:1536
	;; [unrolled: 1-line block ×9, first 2 shown]
	global_wb scope:SCOPE_SE
	s_wait_loadcnt_dscnt 0x0
	s_barrier_signal -1
	s_barrier_wait -1
	global_inv scope:SCOPE_SE
	v_mul_f64_e32 v[103:104], v[73:74], v[28:29]
	v_mul_f64_e32 v[93:94], v[6:7], v[12:13]
	;; [unrolled: 1-line block ×15, first 2 shown]
	v_fma_f64 v[46:47], v[46:47], v[4:5], v[54:55]
	v_fma_f64 v[48:49], v[48:49], v[4:5], -v[91:92]
	v_mul_f64_e32 v[54:55], v[67:68], v[24:25]
	v_mul_f64_e32 v[24:25], v[69:70], v[24:25]
	;; [unrolled: 1-line block ×3, first 2 shown]
	v_fma_f64 v[4:5], v[8:9], v[10:11], -v[93:94]
	v_fma_f64 v[52:53], v[52:53], v[14:15], -v[95:96]
	;; [unrolled: 1-line block ×3, first 2 shown]
	v_fma_f64 v[50:51], v[50:51], v[14:15], v[16:17]
	v_fma_f64 v[6:7], v[6:7], v[10:11], v[12:13]
	;; [unrolled: 1-line block ×6, first 2 shown]
	v_fma_f64 v[16:17], v[85:86], v[38:39], -v[105:106]
	v_fma_f64 v[28:29], v[75:76], v[30:31], v[99:100]
	v_fma_f64 v[30:31], v[77:78], v[30:31], -v[32:33]
	v_add_f64_e32 v[65:66], v[0:1], v[46:47]
	v_add_f64_e32 v[93:94], v[2:3], v[48:49]
	v_fma_f64 v[54:55], v[69:70], v[22:23], -v[54:55]
	v_fma_f64 v[63:64], v[67:68], v[22:23], v[24:25]
	v_fma_f64 v[22:23], v[89:90], v[42:43], -v[44:45]
	v_fma_f64 v[12:13], v[73:74], v[26:27], -v[91:92]
	v_fma_f64 v[24:25], v[79:80], v[34:35], v[101:102]
	v_fma_f64 v[26:27], v[81:82], v[34:35], -v[36:37]
	v_add_f64_e64 v[32:33], v[48:49], -v[4:5]
	v_add_f64_e32 v[34:35], v[48:49], v[4:5]
	v_add_f64_e64 v[36:37], v[52:53], -v[8:9]
	v_add_f64_e32 v[38:39], v[52:53], v[8:9]
	v_add_f64_e32 v[48:49], v[46:47], v[6:7]
	v_add_f64_e64 v[46:47], v[46:47], -v[6:7]
	v_add_f64_e32 v[73:74], v[28:29], v[18:19]
	v_add_f64_e64 v[71:72], v[30:31], -v[16:17]
	;; [unrolled: 2-line block ×3, first 2 shown]
	v_add_f64_e32 v[40:41], v[65:66], v[50:51]
	v_add_f64_e32 v[42:43], v[93:94], v[52:53]
	v_add_f64_e32 v[52:53], v[50:51], v[10:11]
	v_add_f64_e64 v[50:51], v[50:51], -v[10:11]
	v_add_f64_e32 v[67:68], v[63:64], v[14:15]
	v_add_f64_e64 v[44:45], v[54:55], -v[12:13]
	v_add_f64_e32 v[65:66], v[54:55], v[12:13]
	;; [unrolled: 2-line block ×4, first 2 shown]
	v_add_f64_e64 v[81:82], v[26:27], -v[22:23]
	v_mul_f64_e32 v[91:92], s[8:9], v[32:33]
	v_mul_f64_e32 v[93:94], s[12:13], v[34:35]
	;; [unrolled: 1-line block ×12, first 2 shown]
	s_wait_alu 0xfffe
	v_mul_f64_e32 v[109:110], s[30:31], v[36:37]
	v_mul_f64_e32 v[111:112], s[34:35], v[38:39]
	;; [unrolled: 1-line block ×5, first 2 shown]
	v_add_f64_e32 v[40:41], v[40:41], v[63:64]
	v_add_f64_e32 v[42:43], v[42:43], v[54:55]
	v_mul_f64_e32 v[54:55], s[18:19], v[36:37]
	v_mul_f64_e32 v[36:37], s[4:5], v[36:37]
	;; [unrolled: 1-line block ×21, first 2 shown]
	v_fma_f64 v[157:158], v[48:49], s[14:15], v[87:88]
	v_fma_f64 v[87:88], v[48:49], s[14:15], -v[87:88]
	v_fma_f64 v[161:162], v[48:49], s[22:23], v[95:96]
	v_fma_f64 v[163:164], v[46:47], s[18:19], v[97:98]
	v_fma_f64 v[95:96], v[48:49], s[22:23], -v[95:96]
	v_fma_f64 v[165:166], v[48:49], s[28:29], v[99:100]
	v_fma_f64 v[167:168], v[46:47], s[24:25], v[101:102]
	;; [unrolled: 1-line block ×4, first 2 shown]
	v_fma_f64 v[99:100], v[48:49], s[28:29], -v[99:100]
	v_fma_f64 v[169:170], v[48:49], s[34:35], v[32:33]
	v_fma_f64 v[171:172], v[46:47], s[30:31], v[34:35]
	;; [unrolled: 1-line block ×4, first 2 shown]
	v_fma_f64 v[32:33], v[48:49], s[34:35], -v[32:33]
	v_add_f64_e32 v[28:29], v[40:41], v[28:29]
	v_add_f64_e32 v[30:31], v[42:43], v[30:31]
	v_fma_f64 v[40:41], v[48:49], s[12:13], v[91:92]
	v_fma_f64 v[42:43], v[46:47], s[10:11], v[93:94]
	v_fma_f64 v[91:92], v[48:49], s[12:13], -v[91:92]
	v_fma_f64 v[93:94], v[46:47], s[8:9], v[93:94]
	v_fma_f64 v[34:35], v[46:47], s[26:27], v[34:35]
	;; [unrolled: 1-line block ×3, first 2 shown]
	v_fma_f64 v[103:104], v[52:53], s[12:13], -v[103:104]
	v_fma_f64 v[173:174], v[52:53], s[28:29], v[107:108]
	v_fma_f64 v[107:108], v[52:53], s[28:29], -v[107:108]
	v_fma_f64 v[175:176], v[52:53], s[34:35], v[109:110]
	;; [unrolled: 2-line block ×5, first 2 shown]
	v_fma_f64 v[181:182], v[50:51], s[26:27], v[111:112]
	v_fma_f64 v[183:184], v[50:51], s[16:17], v[113:114]
	;; [unrolled: 1-line block ×5, first 2 shown]
	v_add_f64_e32 v[157:158], v[0:1], v[157:158]
	v_add_f64_e32 v[87:88], v[0:1], v[87:88]
	;; [unrolled: 1-line block ×7, first 2 shown]
	v_fma_f64 v[38:39], v[50:51], s[4:5], v[38:39]
	v_add_f64_e32 v[89:90], v[2:3], v[89:90]
	v_add_f64_e32 v[99:100], v[0:1], v[99:100]
	;; [unrolled: 1-line block ×15, first 2 shown]
	v_fma_f64 v[113:114], v[50:51], s[18:19], v[113:114]
	v_fma_f64 v[111:112], v[50:51], s[30:31], v[111:112]
	;; [unrolled: 1-line block ×6, first 2 shown]
	v_fma_f64 v[30:31], v[67:68], s[22:23], -v[115:116]
	v_fma_f64 v[115:116], v[67:68], s[34:35], -v[117:118]
	v_fma_f64 v[117:118], v[67:68], s[12:13], v[119:120]
	v_fma_f64 v[34:35], v[69:70], s[30:31], v[125:126]
	v_fma_f64 v[125:126], v[69:70], s[8:9], v[127:128]
	v_fma_f64 v[187:188], v[67:68], s[14:15], v[121:122]
	v_mul_f64_e32 v[139:140], s[28:29], v[83:84]
	v_mul_f64_e32 v[83:84], s[12:13], v[83:84]
	v_fma_f64 v[119:120], v[67:68], s[12:13], -v[119:120]
	v_add_f64_e32 v[46:47], v[46:47], v[157:158]
	v_add_f64_e32 v[87:88], v[103:104], v[87:88]
	;; [unrolled: 1-line block ×7, first 2 shown]
	v_fma_f64 v[121:122], v[67:68], s[14:15], -v[121:122]
	v_fma_f64 v[189:190], v[67:68], s[28:29], v[44:45]
	v_fma_f64 v[44:45], v[67:68], s[28:29], -v[44:45]
	v_fma_f64 v[67:68], v[69:70], s[18:19], v[123:124]
	v_fma_f64 v[123:124], v[69:70], s[16:17], v[123:124]
	v_add_f64_e32 v[89:90], v[105:106], v[89:90]
	v_add_f64_e32 v[54:55], v[54:55], v[99:100]
	;; [unrolled: 1-line block ×7, first 2 shown]
	v_fma_f64 v[24:25], v[69:70], s[4:5], v[129:130]
	v_add_f64_e32 v[91:92], v[107:108], v[91:92]
	v_fma_f64 v[26:27], v[69:70], s[0:1], v[129:130]
	v_fma_f64 v[129:130], v[69:70], s[24:25], v[65:66]
	v_add_f64_e32 v[167:168], v[185:186], v[171:172]
	v_fma_f64 v[65:66], v[69:70], s[20:21], v[65:66]
	v_add_f64_e32 v[0:1], v[36:37], v[0:1]
	v_add_f64_e32 v[2:3], v[38:39], v[2:3]
	;; [unrolled: 1-line block ×3, first 2 shown]
	v_fma_f64 v[127:128], v[69:70], s[10:11], v[127:128]
	v_add_f64_e32 v[38:39], v[111:112], v[97:98]
	v_add_f64_e32 v[63:64], v[63:64], v[93:94]
	;; [unrolled: 1-line block ×3, first 2 shown]
	v_mul_f64_e32 v[147:148], s[26:27], v[81:82]
	v_mul_f64_e32 v[149:150], s[4:5], v[81:82]
	;; [unrolled: 1-line block ×6, first 2 shown]
	v_fma_f64 v[173:174], v[73:74], s[22:23], v[133:134]
	v_fma_f64 v[93:94], v[85:86], s[16:17], v[141:142]
	v_mul_f64_e32 v[157:158], s[28:29], v[79:80]
	v_fma_f64 v[52:53], v[73:74], s[14:15], v[135:136]
	v_fma_f64 v[101:102], v[85:86], s[4:5], v[143:144]
	v_add_f64_e32 v[30:31], v[30:31], v[87:88]
	v_add_f64_e32 v[87:88], v[125:126], v[163:164]
	v_mul_f64_e32 v[155:156], s[34:35], v[79:80]
	v_mul_f64_e32 v[103:104], s[12:13], v[79:80]
	;; [unrolled: 1-line block ×3, first 2 shown]
	v_fma_f64 v[105:106], v[73:74], s[28:29], v[131:132]
	v_fma_f64 v[131:132], v[73:74], s[28:29], -v[131:132]
	v_fma_f64 v[107:108], v[73:74], s[34:35], v[137:138]
	v_fma_f64 v[113:114], v[85:86], s[30:31], v[145:146]
	v_add_f64_e32 v[28:29], v[28:29], v[46:47]
	v_add_f64_e32 v[18:19], v[20:21], v[18:19]
	;; [unrolled: 1-line block ×9, first 2 shown]
	v_fma_f64 v[133:134], v[73:74], s[22:23], -v[133:134]
	v_fma_f64 v[135:136], v[73:74], s[14:15], -v[135:136]
	;; [unrolled: 1-line block ×3, first 2 shown]
	v_fma_f64 v[20:21], v[73:74], s[12:13], v[71:72]
	v_fma_f64 v[22:23], v[73:74], s[12:13], -v[71:72]
	v_fma_f64 v[73:74], v[85:86], s[20:21], v[139:140]
	v_fma_f64 v[97:98], v[85:86], s[18:19], v[141:142]
	v_fma_f64 v[141:142], v[85:86], s[8:9], v[83:84]
	v_add_f64_e32 v[46:47], v[123:124], v[89:90]
	v_add_f64_e32 v[89:90], v[119:120], v[95:96]
	;; [unrolled: 1-line block ×4, first 2 shown]
	v_fma_f64 v[83:84], v[85:86], s[10:11], v[83:84]
	v_add_f64_e32 v[0:1], v[44:45], v[0:1]
	v_add_f64_e32 v[2:3], v[65:66], v[2:3]
	v_fma_f64 v[71:72], v[85:86], s[24:25], v[139:140]
	v_fma_f64 v[139:140], v[85:86], s[26:27], v[145:146]
	v_add_f64_e32 v[54:55], v[121:122], v[54:55]
	v_add_f64_e32 v[26:27], v[26:27], v[36:37]
	v_fma_f64 v[111:112], v[85:86], s[0:1], v[143:144]
	v_add_f64_e32 v[36:37], v[127:128], v[38:39]
	v_add_f64_e32 v[34:35], v[34:35], v[63:64]
	;; [unrolled: 1-line block ×3, first 2 shown]
	v_fma_f64 v[145:146], v[75:76], s[14:15], v[149:150]
	v_fma_f64 v[65:66], v[75:76], s[22:23], v[81:82]
	v_fma_f64 v[67:68], v[75:76], s[22:23], -v[81:82]
	v_fma_f64 v[81:82], v[77:78], s[0:1], v[69:70]
	v_fma_f64 v[109:110], v[77:78], s[24:25], v[157:158]
	;; [unrolled: 1-line block ×3, first 2 shown]
	v_fma_f64 v[143:144], v[75:76], s[34:35], -v[147:148]
	v_add_f64_e32 v[14:15], v[18:19], v[14:15]
	v_add_f64_e32 v[12:13], v[16:17], v[12:13]
	;; [unrolled: 1-line block ×4, first 2 shown]
	v_fma_f64 v[18:19], v[75:76], s[28:29], v[151:152]
	v_add_f64_e32 v[50:51], v[52:53], v[50:51]
	v_add_f64_e32 v[52:53], v[101:102], v[87:88]
	v_fma_f64 v[147:148], v[75:76], s[14:15], -v[149:150]
	v_fma_f64 v[44:45], v[75:76], s[28:29], -v[151:152]
	v_fma_f64 v[48:49], v[75:76], s[12:13], v[153:154]
	v_fma_f64 v[63:64], v[75:76], s[12:13], -v[153:154]
	v_fma_f64 v[75:76], v[77:78], s[30:31], v[155:156]
	v_fma_f64 v[16:17], v[77:78], s[26:27], v[155:156]
	;; [unrolled: 1-line block ×8, first 2 shown]
	v_add_f64_e32 v[28:29], v[105:106], v[28:29]
	v_add_f64_e32 v[30:31], v[131:132], v[30:31]
	;; [unrolled: 1-line block ×40, first 2 shown]
	ds_store_b128 v62, v[12:15] offset:1536
	ds_store_b128 v62, v[20:23] offset:2304
	ds_store_b128 v62, v[28:31] offset:3072
	ds_store_b128 v62, v[36:39] offset:3840
	ds_store_b128 v62, v[40:43] offset:4608
	ds_store_b128 v62, v[32:35] offset:5376
	ds_store_b128 v62, v[24:27] offset:6144
	ds_store_b128 v62, v[16:19] offset:6912
	ds_store_b128 v62, v[8:11] offset:7680
	ds_store_b128 v62, v[0:3] offset:768
	ds_store_b128 v62, v[44:47]
	global_wb scope:SCOPE_SE
	s_wait_dscnt 0x0
	s_barrier_signal -1
	s_barrier_wait -1
	global_inv scope:SCOPE_SE
	s_and_saveexec_b32 s0, vcc_lo
	s_cbranch_execz .LBB0_33
; %bb.32:
	v_mul_lo_u32 v2, s3, v60
	v_mul_lo_u32 v3, s2, v61
	v_mad_co_u64_u32 v[0:1], null, s2, v60, 0
	v_lshl_add_u32 v28, v58, 4, 0
	v_dual_mov_b32 v59, 0 :: v_dual_add_nc_u32 v12, 48, v58
	v_lshlrev_b64_e32 v[8:9], 4, v[56:57]
	v_add_nc_u32_e32 v22, 0xf0, v58
	s_delay_alu instid0(VALU_DEP_3) | instskip(SKIP_4) | instid1(VALU_DEP_4)
	v_dual_mov_b32 v25, v59 :: v_dual_add_nc_u32 v24, 0x120, v58
	v_add3_u32 v1, v1, v3, v2
	v_mov_b32_e32 v13, v59
	v_lshlrev_b64_e32 v[14:15], 4, v[58:59]
	v_mov_b32_e32 v23, v59
	v_lshlrev_b64_e32 v[10:11], 4, v[0:1]
	ds_load_b128 v[0:3], v28
	ds_load_b128 v[4:7], v28 offset:768
	v_lshlrev_b64_e32 v[22:23], 4, v[22:23]
	v_add_co_u32 v10, vcc_lo, s6, v10
	s_wait_alu 0xfffd
	v_add_co_ci_u32_e32 v11, vcc_lo, s7, v11, vcc_lo
	s_delay_alu instid0(VALU_DEP_2) | instskip(SKIP_1) | instid1(VALU_DEP_2)
	v_add_co_u32 v30, vcc_lo, v10, v8
	s_wait_alu 0xfffd
	v_add_co_ci_u32_e32 v31, vcc_lo, v11, v9, vcc_lo
	v_lshlrev_b64_e32 v[8:9], 4, v[12:13]
	v_add_nc_u32_e32 v12, 0x60, v58
	v_add_co_u32 v10, vcc_lo, v30, v14
	s_wait_alu 0xfffd
	v_add_co_ci_u32_e32 v11, vcc_lo, v31, v15, vcc_lo
	s_delay_alu instid0(VALU_DEP_4)
	v_add_co_u32 v8, vcc_lo, v30, v8
	s_wait_alu 0xfffd
	v_add_co_ci_u32_e32 v9, vcc_lo, v31, v9, vcc_lo
	s_wait_dscnt 0x1
	global_store_b128 v[10:11], v[0:3], off
	s_wait_dscnt 0x0
	global_store_b128 v[8:9], v[4:7], off
	v_lshlrev_b64_e32 v[0:1], 4, v[12:13]
	v_dual_mov_b32 v9, v59 :: v_dual_add_nc_u32 v8, 0x90, v58
	v_dual_mov_b32 v11, v59 :: v_dual_add_nc_u32 v10, 0xc0, v58
	s_delay_alu instid0(VALU_DEP_3) | instskip(SKIP_1) | instid1(VALU_DEP_4)
	v_add_co_u32 v16, vcc_lo, v30, v0
	s_wait_alu 0xfffd
	v_add_co_ci_u32_e32 v17, vcc_lo, v31, v1, vcc_lo
	ds_load_b128 v[0:3], v28 offset:1536
	ds_load_b128 v[4:7], v28 offset:2304
	v_lshlrev_b64_e32 v[18:19], 4, v[8:9]
	v_lshlrev_b64_e32 v[20:21], 4, v[10:11]
	ds_load_b128 v[8:11], v28 offset:3072
	ds_load_b128 v[12:15], v28 offset:3840
	v_add_co_u32 v18, vcc_lo, v30, v18
	s_wait_alu 0xfffd
	v_add_co_ci_u32_e32 v19, vcc_lo, v31, v19, vcc_lo
	v_add_co_u32 v20, vcc_lo, v30, v20
	s_wait_alu 0xfffd
	v_add_co_ci_u32_e32 v21, vcc_lo, v31, v21, vcc_lo
	v_add_co_u32 v22, vcc_lo, v30, v22
	s_wait_dscnt 0x3
	global_store_b128 v[16:17], v[0:3], off
	s_wait_dscnt 0x2
	global_store_b128 v[18:19], v[4:7], off
	v_dual_mov_b32 v3, v59 :: v_dual_add_nc_u32 v2, 0x150, v58
	s_wait_alu 0xfffd
	v_add_co_ci_u32_e32 v23, vcc_lo, v31, v23, vcc_lo
	v_lshlrev_b64_e32 v[0:1], 4, v[24:25]
	s_wait_dscnt 0x1
	global_store_b128 v[20:21], v[8:11], off
	s_wait_dscnt 0x0
	global_store_b128 v[22:23], v[12:15], off
	v_lshlrev_b64_e32 v[8:9], 4, v[2:3]
	v_dual_mov_b32 v11, v59 :: v_dual_add_nc_u32 v10, 0x180, v58
	v_add_co_u32 v20, vcc_lo, v30, v0
	s_wait_alu 0xfffd
	v_add_co_ci_u32_e32 v21, vcc_lo, v31, v1, vcc_lo
	s_delay_alu instid0(VALU_DEP_4)
	v_add_co_u32 v22, vcc_lo, v30, v8
	ds_load_b128 v[0:3], v28 offset:4608
	ds_load_b128 v[4:7], v28 offset:5376
	s_wait_alu 0xfffd
	v_add_co_ci_u32_e32 v23, vcc_lo, v31, v9, vcc_lo
	v_lshlrev_b64_e32 v[26:27], 4, v[10:11]
	ds_load_b128 v[8:11], v28 offset:6144
	ds_load_b128 v[12:15], v28 offset:6912
	;; [unrolled: 1-line block ×3, first 2 shown]
	v_add_nc_u32_e32 v24, 0x1b0, v58
	v_add_nc_u32_e32 v58, 0x1e0, v58
	v_add_co_u32 v26, vcc_lo, v30, v26
	s_delay_alu instid0(VALU_DEP_3) | instskip(NEXT) | instid1(VALU_DEP_3)
	v_lshlrev_b64_e32 v[24:25], 4, v[24:25]
	v_lshlrev_b64_e32 v[28:29], 4, v[58:59]
	s_wait_alu 0xfffd
	v_add_co_ci_u32_e32 v27, vcc_lo, v31, v27, vcc_lo
	s_delay_alu instid0(VALU_DEP_3)
	v_add_co_u32 v24, vcc_lo, v30, v24
	s_wait_alu 0xfffd
	v_add_co_ci_u32_e32 v25, vcc_lo, v31, v25, vcc_lo
	v_add_co_u32 v28, vcc_lo, v30, v28
	s_wait_alu 0xfffd
	v_add_co_ci_u32_e32 v29, vcc_lo, v31, v29, vcc_lo
	s_wait_dscnt 0x4
	global_store_b128 v[20:21], v[0:3], off
	s_wait_dscnt 0x3
	global_store_b128 v[22:23], v[4:7], off
	;; [unrolled: 2-line block ×5, first 2 shown]
.LBB0_33:
	s_nop 0
	s_sendmsg sendmsg(MSG_DEALLOC_VGPRS)
	s_endpgm
	.section	.rodata,"a",@progbits
	.p2align	6, 0x0
	.amdhsa_kernel fft_rtc_back_len528_factors_4_4_3_11_wgs_48_tpt_48_halfLds_dp_op_CI_CI_unitstride_sbrr_C2R_dirReg
		.amdhsa_group_segment_fixed_size 0
		.amdhsa_private_segment_fixed_size 0
		.amdhsa_kernarg_size 104
		.amdhsa_user_sgpr_count 2
		.amdhsa_user_sgpr_dispatch_ptr 0
		.amdhsa_user_sgpr_queue_ptr 0
		.amdhsa_user_sgpr_kernarg_segment_ptr 1
		.amdhsa_user_sgpr_dispatch_id 0
		.amdhsa_user_sgpr_private_segment_size 0
		.amdhsa_wavefront_size32 1
		.amdhsa_uses_dynamic_stack 0
		.amdhsa_enable_private_segment 0
		.amdhsa_system_sgpr_workgroup_id_x 1
		.amdhsa_system_sgpr_workgroup_id_y 0
		.amdhsa_system_sgpr_workgroup_id_z 0
		.amdhsa_system_sgpr_workgroup_info 0
		.amdhsa_system_vgpr_workitem_id 0
		.amdhsa_next_free_vgpr 191
		.amdhsa_next_free_sgpr 39
		.amdhsa_reserve_vcc 1
		.amdhsa_float_round_mode_32 0
		.amdhsa_float_round_mode_16_64 0
		.amdhsa_float_denorm_mode_32 3
		.amdhsa_float_denorm_mode_16_64 3
		.amdhsa_fp16_overflow 0
		.amdhsa_workgroup_processor_mode 1
		.amdhsa_memory_ordered 1
		.amdhsa_forward_progress 0
		.amdhsa_round_robin_scheduling 0
		.amdhsa_exception_fp_ieee_invalid_op 0
		.amdhsa_exception_fp_denorm_src 0
		.amdhsa_exception_fp_ieee_div_zero 0
		.amdhsa_exception_fp_ieee_overflow 0
		.amdhsa_exception_fp_ieee_underflow 0
		.amdhsa_exception_fp_ieee_inexact 0
		.amdhsa_exception_int_div_zero 0
	.end_amdhsa_kernel
	.text
.Lfunc_end0:
	.size	fft_rtc_back_len528_factors_4_4_3_11_wgs_48_tpt_48_halfLds_dp_op_CI_CI_unitstride_sbrr_C2R_dirReg, .Lfunc_end0-fft_rtc_back_len528_factors_4_4_3_11_wgs_48_tpt_48_halfLds_dp_op_CI_CI_unitstride_sbrr_C2R_dirReg
                                        ; -- End function
	.section	.AMDGPU.csdata,"",@progbits
; Kernel info:
; codeLenInByte = 9008
; NumSgprs: 41
; NumVgprs: 191
; ScratchSize: 0
; MemoryBound: 0
; FloatMode: 240
; IeeeMode: 1
; LDSByteSize: 0 bytes/workgroup (compile time only)
; SGPRBlocks: 5
; VGPRBlocks: 23
; NumSGPRsForWavesPerEU: 41
; NumVGPRsForWavesPerEU: 191
; Occupancy: 8
; WaveLimiterHint : 1
; COMPUTE_PGM_RSRC2:SCRATCH_EN: 0
; COMPUTE_PGM_RSRC2:USER_SGPR: 2
; COMPUTE_PGM_RSRC2:TRAP_HANDLER: 0
; COMPUTE_PGM_RSRC2:TGID_X_EN: 1
; COMPUTE_PGM_RSRC2:TGID_Y_EN: 0
; COMPUTE_PGM_RSRC2:TGID_Z_EN: 0
; COMPUTE_PGM_RSRC2:TIDIG_COMP_CNT: 0
	.text
	.p2alignl 7, 3214868480
	.fill 96, 4, 3214868480
	.type	__hip_cuid_62aed4411baa1da8,@object ; @__hip_cuid_62aed4411baa1da8
	.section	.bss,"aw",@nobits
	.globl	__hip_cuid_62aed4411baa1da8
__hip_cuid_62aed4411baa1da8:
	.byte	0                               ; 0x0
	.size	__hip_cuid_62aed4411baa1da8, 1

	.ident	"AMD clang version 19.0.0git (https://github.com/RadeonOpenCompute/llvm-project roc-6.4.0 25133 c7fe45cf4b819c5991fe208aaa96edf142730f1d)"
	.section	".note.GNU-stack","",@progbits
	.addrsig
	.addrsig_sym __hip_cuid_62aed4411baa1da8
	.amdgpu_metadata
---
amdhsa.kernels:
  - .args:
      - .actual_access:  read_only
        .address_space:  global
        .offset:         0
        .size:           8
        .value_kind:     global_buffer
      - .offset:         8
        .size:           8
        .value_kind:     by_value
      - .actual_access:  read_only
        .address_space:  global
        .offset:         16
        .size:           8
        .value_kind:     global_buffer
      - .actual_access:  read_only
        .address_space:  global
        .offset:         24
        .size:           8
        .value_kind:     global_buffer
      - .actual_access:  read_only
        .address_space:  global
        .offset:         32
        .size:           8
        .value_kind:     global_buffer
      - .offset:         40
        .size:           8
        .value_kind:     by_value
      - .actual_access:  read_only
        .address_space:  global
        .offset:         48
        .size:           8
        .value_kind:     global_buffer
      - .actual_access:  read_only
        .address_space:  global
        .offset:         56
        .size:           8
        .value_kind:     global_buffer
      - .offset:         64
        .size:           4
        .value_kind:     by_value
      - .actual_access:  read_only
        .address_space:  global
        .offset:         72
        .size:           8
        .value_kind:     global_buffer
      - .actual_access:  read_only
        .address_space:  global
        .offset:         80
        .size:           8
        .value_kind:     global_buffer
      - .actual_access:  read_only
        .address_space:  global
        .offset:         88
        .size:           8
        .value_kind:     global_buffer
      - .actual_access:  write_only
        .address_space:  global
        .offset:         96
        .size:           8
        .value_kind:     global_buffer
    .group_segment_fixed_size: 0
    .kernarg_segment_align: 8
    .kernarg_segment_size: 104
    .language:       OpenCL C
    .language_version:
      - 2
      - 0
    .max_flat_workgroup_size: 48
    .name:           fft_rtc_back_len528_factors_4_4_3_11_wgs_48_tpt_48_halfLds_dp_op_CI_CI_unitstride_sbrr_C2R_dirReg
    .private_segment_fixed_size: 0
    .sgpr_count:     41
    .sgpr_spill_count: 0
    .symbol:         fft_rtc_back_len528_factors_4_4_3_11_wgs_48_tpt_48_halfLds_dp_op_CI_CI_unitstride_sbrr_C2R_dirReg.kd
    .uniform_work_group_size: 1
    .uses_dynamic_stack: false
    .vgpr_count:     191
    .vgpr_spill_count: 0
    .wavefront_size: 32
    .workgroup_processor_mode: 1
amdhsa.target:   amdgcn-amd-amdhsa--gfx1201
amdhsa.version:
  - 1
  - 2
...

	.end_amdgpu_metadata
